;; amdgpu-corpus repo=ROCm/rocFFT kind=compiled arch=gfx1030 opt=O3
	.text
	.amdgcn_target "amdgcn-amd-amdhsa--gfx1030"
	.amdhsa_code_object_version 6
	.protected	fft_rtc_fwd_len220_factors_10_2_11_wgs_110_tpt_22_dp_ip_CI_unitstride_sbrr_dirReg ; -- Begin function fft_rtc_fwd_len220_factors_10_2_11_wgs_110_tpt_22_dp_ip_CI_unitstride_sbrr_dirReg
	.globl	fft_rtc_fwd_len220_factors_10_2_11_wgs_110_tpt_22_dp_ip_CI_unitstride_sbrr_dirReg
	.p2align	8
	.type	fft_rtc_fwd_len220_factors_10_2_11_wgs_110_tpt_22_dp_ip_CI_unitstride_sbrr_dirReg,@function
fft_rtc_fwd_len220_factors_10_2_11_wgs_110_tpt_22_dp_ip_CI_unitstride_sbrr_dirReg: ; @fft_rtc_fwd_len220_factors_10_2_11_wgs_110_tpt_22_dp_ip_CI_unitstride_sbrr_dirReg
; %bb.0:
	s_load_dwordx4 s[8:11], s[4:5], 0x0
	v_mul_u32_u24_e32 v1, 0xba3, v0
	s_clause 0x1
	s_load_dwordx2 s[2:3], s[4:5], 0x50
	s_load_dwordx2 s[12:13], s[4:5], 0x18
	v_lshrrev_b32_e32 v2, 16, v1
	v_mov_b32_e32 v1, 0
	v_mad_u64_u32 v[40:41], null, s6, 5, v[2:3]
	v_mov_b32_e32 v41, v1
	v_mov_b32_e32 v3, 0
	;; [unrolled: 1-line block ×4, first 2 shown]
	s_waitcnt lgkmcnt(0)
	v_cmp_lt_u64_e64 s0, s[10:11], 2
	v_mov_b32_e32 v8, v41
	s_and_b32 vcc_lo, exec_lo, s0
	s_cbranch_vccnz .LBB0_8
; %bb.1:
	s_load_dwordx2 s[0:1], s[4:5], 0x10
	v_mov_b32_e32 v3, 0
	v_mov_b32_e32 v5, v40
	s_add_u32 s6, s12, 8
	v_mov_b32_e32 v4, 0
	v_mov_b32_e32 v6, v41
	s_addc_u32 s7, s13, 0
	s_mov_b64 s[16:17], 1
	s_waitcnt lgkmcnt(0)
	s_add_u32 s14, s0, 8
	s_addc_u32 s15, s1, 0
.LBB0_2:                                ; =>This Inner Loop Header: Depth=1
	s_load_dwordx2 s[18:19], s[14:15], 0x0
                                        ; implicit-def: $vgpr7_vgpr8
	s_mov_b32 s0, exec_lo
	s_waitcnt lgkmcnt(0)
	v_or_b32_e32 v2, s19, v6
	v_cmpx_ne_u64_e32 0, v[1:2]
	s_xor_b32 s1, exec_lo, s0
	s_cbranch_execz .LBB0_4
; %bb.3:                                ;   in Loop: Header=BB0_2 Depth=1
	v_cvt_f32_u32_e32 v2, s18
	v_cvt_f32_u32_e32 v7, s19
	s_sub_u32 s0, 0, s18
	s_subb_u32 s20, 0, s19
	v_fmac_f32_e32 v2, 0x4f800000, v7
	v_rcp_f32_e32 v2, v2
	v_mul_f32_e32 v2, 0x5f7ffffc, v2
	v_mul_f32_e32 v7, 0x2f800000, v2
	v_trunc_f32_e32 v7, v7
	v_fmac_f32_e32 v2, 0xcf800000, v7
	v_cvt_u32_f32_e32 v7, v7
	v_cvt_u32_f32_e32 v2, v2
	v_mul_lo_u32 v8, s0, v7
	v_mul_hi_u32 v9, s0, v2
	v_mul_lo_u32 v10, s20, v2
	v_add_nc_u32_e32 v8, v9, v8
	v_mul_lo_u32 v9, s0, v2
	v_add_nc_u32_e32 v8, v8, v10
	v_mul_hi_u32 v10, v2, v9
	v_mul_lo_u32 v11, v2, v8
	v_mul_hi_u32 v12, v2, v8
	v_mul_hi_u32 v13, v7, v9
	v_mul_lo_u32 v9, v7, v9
	v_mul_hi_u32 v14, v7, v8
	v_mul_lo_u32 v8, v7, v8
	v_add_co_u32 v10, vcc_lo, v10, v11
	v_add_co_ci_u32_e32 v11, vcc_lo, 0, v12, vcc_lo
	v_add_co_u32 v9, vcc_lo, v10, v9
	v_add_co_ci_u32_e32 v9, vcc_lo, v11, v13, vcc_lo
	v_add_co_ci_u32_e32 v10, vcc_lo, 0, v14, vcc_lo
	v_add_co_u32 v8, vcc_lo, v9, v8
	v_add_co_ci_u32_e32 v9, vcc_lo, 0, v10, vcc_lo
	v_add_co_u32 v2, vcc_lo, v2, v8
	v_add_co_ci_u32_e32 v7, vcc_lo, v7, v9, vcc_lo
	v_mul_hi_u32 v8, s0, v2
	v_mul_lo_u32 v10, s20, v2
	v_mul_lo_u32 v9, s0, v7
	v_add_nc_u32_e32 v8, v8, v9
	v_mul_lo_u32 v9, s0, v2
	v_add_nc_u32_e32 v8, v8, v10
	v_mul_hi_u32 v10, v2, v9
	v_mul_lo_u32 v11, v2, v8
	v_mul_hi_u32 v12, v2, v8
	v_mul_hi_u32 v13, v7, v9
	v_mul_lo_u32 v9, v7, v9
	v_mul_hi_u32 v14, v7, v8
	v_mul_lo_u32 v8, v7, v8
	v_add_co_u32 v10, vcc_lo, v10, v11
	v_add_co_ci_u32_e32 v11, vcc_lo, 0, v12, vcc_lo
	v_add_co_u32 v9, vcc_lo, v10, v9
	v_add_co_ci_u32_e32 v9, vcc_lo, v11, v13, vcc_lo
	v_add_co_ci_u32_e32 v10, vcc_lo, 0, v14, vcc_lo
	v_add_co_u32 v8, vcc_lo, v9, v8
	v_add_co_ci_u32_e32 v9, vcc_lo, 0, v10, vcc_lo
	v_add_co_u32 v2, vcc_lo, v2, v8
	v_add_co_ci_u32_e32 v11, vcc_lo, v7, v9, vcc_lo
	v_mul_hi_u32 v13, v5, v2
	v_mad_u64_u32 v[9:10], null, v6, v2, 0
	v_mad_u64_u32 v[7:8], null, v5, v11, 0
	v_mad_u64_u32 v[11:12], null, v6, v11, 0
	v_add_co_u32 v2, vcc_lo, v13, v7
	v_add_co_ci_u32_e32 v7, vcc_lo, 0, v8, vcc_lo
	v_add_co_u32 v2, vcc_lo, v2, v9
	v_add_co_ci_u32_e32 v2, vcc_lo, v7, v10, vcc_lo
	v_add_co_ci_u32_e32 v7, vcc_lo, 0, v12, vcc_lo
	v_add_co_u32 v2, vcc_lo, v2, v11
	v_add_co_ci_u32_e32 v9, vcc_lo, 0, v7, vcc_lo
	v_mul_lo_u32 v10, s19, v2
	v_mad_u64_u32 v[7:8], null, s18, v2, 0
	v_mul_lo_u32 v11, s18, v9
	v_sub_co_u32 v7, vcc_lo, v5, v7
	v_add3_u32 v8, v8, v11, v10
	v_sub_nc_u32_e32 v10, v6, v8
	v_subrev_co_ci_u32_e64 v10, s0, s19, v10, vcc_lo
	v_add_co_u32 v11, s0, v2, 2
	v_add_co_ci_u32_e64 v12, s0, 0, v9, s0
	v_sub_co_u32 v13, s0, v7, s18
	v_sub_co_ci_u32_e32 v8, vcc_lo, v6, v8, vcc_lo
	v_subrev_co_ci_u32_e64 v10, s0, 0, v10, s0
	v_cmp_le_u32_e32 vcc_lo, s18, v13
	v_cmp_eq_u32_e64 s0, s19, v8
	v_cndmask_b32_e64 v13, 0, -1, vcc_lo
	v_cmp_le_u32_e32 vcc_lo, s19, v10
	v_cndmask_b32_e64 v14, 0, -1, vcc_lo
	v_cmp_le_u32_e32 vcc_lo, s18, v7
	;; [unrolled: 2-line block ×3, first 2 shown]
	v_cndmask_b32_e64 v15, 0, -1, vcc_lo
	v_cmp_eq_u32_e32 vcc_lo, s19, v10
	v_cndmask_b32_e64 v7, v15, v7, s0
	v_cndmask_b32_e32 v10, v14, v13, vcc_lo
	v_add_co_u32 v13, vcc_lo, v2, 1
	v_add_co_ci_u32_e32 v14, vcc_lo, 0, v9, vcc_lo
	v_cmp_ne_u32_e32 vcc_lo, 0, v10
	v_cndmask_b32_e32 v8, v14, v12, vcc_lo
	v_cndmask_b32_e32 v10, v13, v11, vcc_lo
	v_cmp_ne_u32_e32 vcc_lo, 0, v7
	v_cndmask_b32_e32 v8, v9, v8, vcc_lo
	v_cndmask_b32_e32 v7, v2, v10, vcc_lo
.LBB0_4:                                ;   in Loop: Header=BB0_2 Depth=1
	s_andn2_saveexec_b32 s0, s1
	s_cbranch_execz .LBB0_6
; %bb.5:                                ;   in Loop: Header=BB0_2 Depth=1
	v_cvt_f32_u32_e32 v2, s18
	s_sub_i32 s1, 0, s18
	v_rcp_iflag_f32_e32 v2, v2
	v_mul_f32_e32 v2, 0x4f7ffffe, v2
	v_cvt_u32_f32_e32 v2, v2
	v_mul_lo_u32 v7, s1, v2
	v_mul_hi_u32 v7, v2, v7
	v_add_nc_u32_e32 v2, v2, v7
	v_mul_hi_u32 v2, v5, v2
	v_mul_lo_u32 v7, v2, s18
	v_add_nc_u32_e32 v8, 1, v2
	v_sub_nc_u32_e32 v7, v5, v7
	v_subrev_nc_u32_e32 v9, s18, v7
	v_cmp_le_u32_e32 vcc_lo, s18, v7
	v_cndmask_b32_e32 v7, v7, v9, vcc_lo
	v_cndmask_b32_e32 v2, v2, v8, vcc_lo
	v_cmp_le_u32_e32 vcc_lo, s18, v7
	v_add_nc_u32_e32 v8, 1, v2
	v_cndmask_b32_e32 v7, v2, v8, vcc_lo
	v_mov_b32_e32 v8, v1
.LBB0_6:                                ;   in Loop: Header=BB0_2 Depth=1
	s_or_b32 exec_lo, exec_lo, s0
	s_load_dwordx2 s[0:1], s[6:7], 0x0
	v_mul_lo_u32 v2, v8, s18
	v_mul_lo_u32 v11, v7, s19
	v_mad_u64_u32 v[9:10], null, v7, s18, 0
	s_add_u32 s16, s16, 1
	s_addc_u32 s17, s17, 0
	s_add_u32 s6, s6, 8
	s_addc_u32 s7, s7, 0
	;; [unrolled: 2-line block ×3, first 2 shown]
	v_add3_u32 v2, v10, v11, v2
	v_sub_co_u32 v5, vcc_lo, v5, v9
	v_sub_co_ci_u32_e32 v2, vcc_lo, v6, v2, vcc_lo
	s_waitcnt lgkmcnt(0)
	v_mul_lo_u32 v6, s1, v5
	v_mul_lo_u32 v2, s0, v2
	v_mad_u64_u32 v[3:4], null, s0, v5, v[3:4]
	v_cmp_ge_u64_e64 s0, s[16:17], s[10:11]
	s_and_b32 vcc_lo, exec_lo, s0
	v_add3_u32 v4, v6, v4, v2
	s_cbranch_vccnz .LBB0_8
; %bb.7:                                ;   in Loop: Header=BB0_2 Depth=1
	v_mov_b32_e32 v5, v7
	v_mov_b32_e32 v6, v8
	s_branch .LBB0_2
.LBB0_8:
	s_lshl_b64 s[0:1], s[10:11], 3
                                        ; implicit-def: $vgpr18_vgpr19
                                        ; implicit-def: $vgpr30_vgpr31
                                        ; implicit-def: $vgpr22_vgpr23
                                        ; implicit-def: $vgpr34_vgpr35
                                        ; implicit-def: $vgpr26_vgpr27
                                        ; implicit-def: $vgpr38_vgpr39
                                        ; implicit-def: $vgpr10_vgpr11
                                        ; implicit-def: $vgpr14_vgpr15
	s_add_u32 s0, s12, s0
	s_addc_u32 s1, s13, s1
	s_load_dwordx2 s[0:1], s[0:1], 0x0
	s_load_dwordx2 s[4:5], s[4:5], 0x20
	s_waitcnt lgkmcnt(0)
	v_mul_lo_u32 v5, s0, v8
	v_mul_lo_u32 v6, s1, v7
	v_mad_u64_u32 v[1:2], null, s0, v7, v[3:4]
	v_mul_hi_u32 v3, 0xba2e8bb, v0
	v_cmp_gt_u64_e32 vcc_lo, s[4:5], v[7:8]
	v_add3_u32 v2, v6, v2, v5
                                        ; implicit-def: $vgpr6_vgpr7
	v_mul_u32_u24_e32 v3, 22, v3
	v_lshlrev_b64 v[86:87], 4, v[1:2]
	v_sub_nc_u32_e32 v84, v0, v3
                                        ; implicit-def: $vgpr2_vgpr3
	s_and_saveexec_b32 s1, vcc_lo
; %bb.9:
	v_mov_b32_e32 v85, 0
	v_add_co_u32 v2, s0, s2, v86
	v_add_co_ci_u32_e64 v3, s0, s3, v87, s0
	v_lshlrev_b64 v[0:1], 4, v[84:85]
	v_add_co_u32 v0, s0, v2, v0
	v_add_co_ci_u32_e64 v1, s0, v3, v1, s0
	s_clause 0x1
	global_load_dwordx4 v[12:15], v[0:1], off
	global_load_dwordx4 v[8:11], v[0:1], off offset:352
	v_add_co_u32 v4, s0, 0x800, v0
	v_add_co_ci_u32_e64 v5, s0, 0, v1, s0
	s_clause 0x7
	global_load_dwordx4 v[36:39], v[0:1], off offset:704
	global_load_dwordx4 v[24:27], v[0:1], off offset:1056
	;; [unrolled: 1-line block ×8, first 2 shown]
; %bb.10:
	s_or_b32 exec_lo, exec_lo, s1
	s_waitcnt vmcnt(7)
	v_add_f64 v[41:42], v[36:37], v[12:13]
	v_add_f64 v[43:44], v[38:39], v[14:15]
	s_waitcnt vmcnt(0)
	v_add_f64 v[45:46], v[4:5], v[24:25]
	v_add_f64 v[47:48], v[16:17], v[20:21]
	;; [unrolled: 1-line block ×8, first 2 shown]
	v_add_f64 v[57:58], v[38:39], -v[2:3]
	v_add_f64 v[63:64], v[36:37], -v[32:33]
	;; [unrolled: 1-line block ×10, first 2 shown]
	s_mov_b32 s4, 0x134454ff
	s_mov_b32 s5, 0x3fee6f0e
	v_add_f64 v[32:33], v[32:33], v[41:42]
	v_add_f64 v[34:35], v[34:35], v[43:44]
	v_fma_f64 v[41:42], v[45:46], -0.5, v[8:9]
	v_add_f64 v[43:44], v[26:27], -v[6:7]
	v_fma_f64 v[45:46], v[47:48], -0.5, v[8:9]
	v_fma_f64 v[59:60], v[59:60], -0.5, v[10:11]
	;; [unrolled: 1-line block ×3, first 2 shown]
	s_mov_b32 s1, 0xbfee6f0e
	s_mov_b32 s0, s4
	v_add_f64 v[73:74], v[0:1], -v[28:29]
	v_add_f64 v[75:76], v[28:29], -v[0:1]
	;; [unrolled: 1-line block ×6, first 2 shown]
	v_fma_f64 v[49:50], v[49:50], -0.5, v[12:13]
	v_fma_f64 v[12:13], v[51:52], -0.5, v[12:13]
	;; [unrolled: 1-line block ×4, first 2 shown]
	v_add_f64 v[55:56], v[26:27], -v[22:23]
	v_add_f64 v[96:97], v[22:23], -v[26:27]
	;; [unrolled: 1-line block ×3, first 2 shown]
	v_add_f64 v[28:29], v[28:29], v[32:33]
	v_add_f64 v[32:33], v[30:31], v[34:35]
	v_fma_f64 v[34:35], v[77:78], s[0:1], v[41:42]
	v_fma_f64 v[41:42], v[77:78], s[4:5], v[41:42]
	;; [unrolled: 1-line block ×4, first 2 shown]
	v_add_f64 v[100:101], v[18:19], -v[6:7]
	v_fma_f64 v[102:103], v[90:91], s[0:1], v[59:60]
	v_fma_f64 v[104:105], v[88:89], s[4:5], v[61:62]
	v_add_f64 v[8:9], v[24:25], v[8:9]
	v_add_f64 v[10:11], v[26:27], v[10:11]
	s_mov_b32 s10, 0x4755a5e
	s_mov_b32 s11, 0x3fe2cf23
	;; [unrolled: 1-line block ×4, first 2 shown]
	v_add_f64 v[36:37], v[36:37], -v[0:1]
	v_add_f64 v[63:64], v[73:74], v[63:64]
	v_add_f64 v[73:74], v[81:82], v[79:80]
	;; [unrolled: 1-line block ×3, first 2 shown]
	v_fma_f64 v[24:25], v[57:58], s[4:5], v[49:50]
	v_fma_f64 v[26:27], v[57:58], s[0:1], v[49:50]
	;; [unrolled: 1-line block ×4, first 2 shown]
	s_mov_b32 s12, 0x372fe950
	v_fma_f64 v[34:35], v[43:44], s[10:11], v[34:35]
	v_fma_f64 v[41:42], v[43:44], s[6:7], v[41:42]
	;; [unrolled: 1-line block ×4, first 2 shown]
	v_add_f64 v[45:46], v[98:99], v[55:56]
	v_add_f64 v[55:56], v[100:101], v[96:97]
	v_fma_f64 v[61:62], v[88:89], s[10:11], v[102:103]
	v_fma_f64 v[77:78], v[90:91], s[10:11], v[104:105]
	v_add_f64 v[8:9], v[20:21], v[8:9]
	v_add_f64 v[10:11], v[22:23], v[10:11]
	s_mov_b32 s13, 0x3fd3c6ef
	v_add_f64 v[47:48], v[2:3], -v[30:31]
	v_add_f64 v[30:31], v[30:31], -v[2:3]
	v_fma_f64 v[81:82], v[69:70], s[0:1], v[12:13]
	v_fma_f64 v[12:13], v[69:70], s[4:5], v[12:13]
	;; [unrolled: 1-line block ×8, first 2 shown]
	v_add_f64 v[20:21], v[75:76], v[65:66]
	v_fma_f64 v[34:35], v[79:80], s[12:13], v[34:35]
	v_fma_f64 v[41:42], v[79:80], s[12:13], v[41:42]
	;; [unrolled: 1-line block ×4, first 2 shown]
	s_mov_b32 s14, 0x9b97f4a8
	s_mov_b32 s15, 0x3fe9e377
	v_fma_f64 v[61:62], v[55:56], s[12:13], v[61:62]
	v_fma_f64 v[65:66], v[45:46], s[12:13], v[77:78]
	v_add_f64 v[8:9], v[16:17], v[8:9]
	v_add_f64 v[10:11], v[18:19], v[10:11]
	v_fma_f64 v[24:25], v[69:70], s[10:11], v[24:25]
	v_add_f64 v[47:48], v[47:48], v[67:68]
	v_fma_f64 v[26:27], v[69:70], s[6:7], v[26:27]
	v_fma_f64 v[67:68], v[57:58], s[10:11], v[81:82]
	;; [unrolled: 1-line block ×5, first 2 shown]
	v_add_f64 v[18:19], v[30:31], v[38:39]
	v_fma_f64 v[14:15], v[36:37], s[10:11], v[14:15]
	v_fma_f64 v[22:23], v[45:46], s[12:13], v[49:50]
	;; [unrolled: 1-line block ×4, first 2 shown]
	v_mul_f64 v[38:39], v[34:35], s[12:13]
	v_mul_f64 v[45:46], v[41:42], s[12:13]
	;; [unrolled: 1-line block ×8, first 2 shown]
	v_mul_hi_u32 v69, 0xcccccccd, v40
	v_add_f64 v[28:29], v[0:1], v[28:29]
	v_add_f64 v[32:33], v[2:3], v[32:33]
	;; [unrolled: 1-line block ×4, first 2 shown]
	v_fma_f64 v[24:25], v[63:64], s[12:13], v[24:25]
	v_fma_f64 v[63:64], v[63:64], s[12:13], v[26:27]
	;; [unrolled: 1-line block ×3, first 2 shown]
	v_lshrrev_b32_e32 v0, 2, v69
	v_fma_f64 v[67:68], v[20:21], s[12:13], v[12:13]
	v_fma_f64 v[57:58], v[47:48], s[12:13], v[57:58]
	;; [unrolled: 1-line block ×5, first 2 shown]
	v_fma_f64 v[45:46], v[61:62], s[4:5], -v[45:46]
	v_fma_f64 v[36:37], v[22:23], s[10:11], v[36:37]
	v_fma_f64 v[53:54], v[22:23], s[14:15], v[53:54]
	;; [unrolled: 1-line block ×4, first 2 shown]
	v_fma_f64 v[34:35], v[41:42], s[0:1], -v[55:56]
	v_fma_f64 v[49:50], v[65:66], s[10:11], -v[49:50]
	;; [unrolled: 1-line block ×3, first 2 shown]
	v_lshl_add_u32 v0, v0, 2, v0
	v_mul_u32_u24_e32 v44, 10, v84
	v_cmp_gt_u32_e64 s0, 20, v84
	v_add_f64 v[2:3], v[6:7], v[32:33]
	v_add_f64 v[6:7], v[32:33], -v[6:7]
	v_sub_nc_u32_e32 v0, v40, v0
	v_mul_u32_u24_e32 v40, 0xdc, v0
	v_add_f64 v[0:1], v[4:5], v[28:29]
	v_add_f64 v[4:5], v[28:29], -v[4:5]
	v_add_f64 v[12:13], v[26:27], v[38:39]
	v_add_f64 v[16:17], v[67:68], v[45:46]
	v_lshlrev_b32_e32 v40, 4, v40
	v_add_f64 v[8:9], v[24:25], v[36:37]
	v_add_f64 v[10:11], v[57:58], v[53:54]
	v_add_f64 v[14:15], v[51:52], v[30:31]
	v_add_f64 v[18:19], v[69:70], v[34:35]
	v_add_f64 v[20:21], v[63:64], v[49:50]
	v_add_f64 v[22:23], v[47:48], v[41:42]
	v_add_f64 v[32:33], v[67:68], -v[45:46]
	v_add_nc_u32_e32 v45, 0, v40
	v_add_f64 v[28:29], v[26:27], -v[38:39]
	v_add_f64 v[24:25], v[24:25], -v[36:37]
	v_add_nc_u16 v37, v84, 22
	v_and_b32_e32 v36, 0xff, v84
	v_lshl_add_u32 v38, v44, 4, v45
	v_add_f64 v[26:27], v[57:58], -v[53:54]
	v_add_f64 v[30:31], v[51:52], -v[30:31]
	v_and_b32_e32 v39, 0xff, v37
	v_mul_lo_u16 v36, 0xcd, v36
	ds_write_b128 v38, v[0:3]
	v_add_f64 v[0:1], v[63:64], -v[49:50]
	v_add_f64 v[2:3], v[47:48], -v[41:42]
	ds_write_b128 v38, v[8:11] offset:16
	ds_write_b128 v38, v[12:15] offset:32
	v_mul_lo_u16 v8, 0xcd, v39
	ds_write_b128 v38, v[16:19] offset:48
	ds_write_b128 v38, v[20:23] offset:64
	;; [unrolled: 1-line block ×3, first 2 shown]
	v_add_nc_u16 v5, v84, 44
	v_add_nc_u16 v6, v84, 0x42
	;; [unrolled: 1-line block ×3, first 2 shown]
	v_lshrrev_b16 v75, 11, v8
	v_lshrrev_b16 v74, 11, v36
	v_and_b32_e32 v8, 0xff, v5
	v_and_b32_e32 v9, 0xff, v6
	;; [unrolled: 1-line block ×3, first 2 shown]
	v_add_f64 v[34:35], v[69:70], -v[34:35]
	v_mul_lo_u16 v4, v74, 10
	v_mul_lo_u16 v8, 0xcd, v8
	v_mul_lo_u16 v9, 0xcd, v9
	v_mul_lo_u16 v10, v75, 10
	v_mov_b32_e32 v12, 4
	ds_write_b128 v38, v[0:3] offset:144
	v_mul_lo_u16 v0, 0xcd, v11
	v_lshrrev_b16 v76, 11, v8
	v_lshrrev_b16 v77, 11, v9
	v_sub_nc_u16 v4, v84, v4
	v_sub_nc_u16 v1, v37, v10
	v_lshrrev_b16 v78, 11, v0
	v_mul_lo_u16 v0, v76, 10
	v_mul_lo_u16 v2, v77, 10
	v_lshlrev_b32_sdwa v79, v12, v4 dst_sel:DWORD dst_unused:UNUSED_PAD src0_sel:DWORD src1_sel:BYTE_0
	v_lshlrev_b32_sdwa v80, v12, v1 dst_sel:DWORD dst_unused:UNUSED_PAD src0_sel:DWORD src1_sel:BYTE_0
	v_mul_lo_u16 v3, v78, 10
	v_sub_nc_u16 v0, v5, v0
	v_sub_nc_u16 v4, v6, v2
	ds_write_b128 v38, v[24:27] offset:96
	ds_write_b128 v38, v[28:31] offset:112
	v_sub_nc_u16 v8, v7, v3
	v_lshlrev_b32_sdwa v81, v12, v0 dst_sel:DWORD dst_unused:UNUSED_PAD src0_sel:DWORD src1_sel:BYTE_0
	v_lshlrev_b32_sdwa v82, v12, v4 dst_sel:DWORD dst_unused:UNUSED_PAD src0_sel:DWORD src1_sel:BYTE_0
	ds_write_b128 v38, v[32:35] offset:128
	s_waitcnt lgkmcnt(0)
	v_lshlrev_b32_sdwa v83, v12, v8 dst_sel:DWORD dst_unused:UNUSED_PAD src0_sel:DWORD src1_sel:BYTE_0
	s_barrier
	buffer_gl0_inv
	s_clause 0x4
	global_load_dwordx4 v[0:3], v79, s[8:9]
	global_load_dwordx4 v[4:7], v80, s[8:9]
	global_load_dwordx4 v[8:11], v81, s[8:9]
	global_load_dwordx4 v[12:15], v82, s[8:9]
	global_load_dwordx4 v[16:19], v83, s[8:9]
	v_mad_i32_i24 v41, 0xffffff70, v84, v38
	ds_read_b128 v[20:23], v41 offset:1760
	ds_read_b128 v[24:27], v41 offset:2112
	ds_read_b128 v[28:31], v41 offset:2464
	ds_read_b128 v[32:35], v41 offset:2816
	ds_read_b128 v[36:39], v41 offset:3168
	ds_read_b128 v[46:49], v41 offset:1408
	v_lshl_add_u32 v45, v84, 4, v45
	ds_read_b128 v[50:53], v45
	ds_read_b128 v[54:57], v41 offset:352
	ds_read_b128 v[58:61], v41 offset:704
	;; [unrolled: 1-line block ×3, first 2 shown]
	s_waitcnt vmcnt(0) lgkmcnt(0)
	s_barrier
	buffer_gl0_inv
	v_mul_f64 v[42:43], v[22:23], v[2:3]
	v_mul_f64 v[2:3], v[20:21], v[2:3]
	;; [unrolled: 1-line block ×10, first 2 shown]
	v_fma_f64 v[20:21], v[20:21], v[0:1], -v[42:43]
	v_fma_f64 v[0:1], v[22:23], v[0:1], v[2:3]
	v_fma_f64 v[2:3], v[24:25], v[4:5], -v[66:67]
	v_fma_f64 v[22:23], v[26:27], v[4:5], v[6:7]
	;; [unrolled: 2-line block ×5, first 2 shown]
	v_and_b32_e32 v42, 0xffff, v74
	v_and_b32_e32 v43, 0xffff, v75
	;; [unrolled: 1-line block ×5, first 2 shown]
	v_mad_u32_u24 v42, 0x140, v42, 0
	v_mad_u32_u24 v43, 0x140, v43, 0
	v_add3_u32 v42, v42, v79, v40
	v_add3_u32 v43, v43, v80, v40
	v_add_f64 v[4:5], v[50:51], -v[20:21]
	v_add_f64 v[6:7], v[52:53], -v[0:1]
	;; [unrolled: 1-line block ×10, first 2 shown]
	v_fma_f64 v[0:1], v[50:51], 2.0, -v[4:5]
	v_fma_f64 v[2:3], v[52:53], 2.0, -v[6:7]
	v_fma_f64 v[24:25], v[54:55], 2.0, -v[8:9]
	v_fma_f64 v[26:27], v[56:57], 2.0, -v[10:11]
	v_fma_f64 v[28:29], v[58:59], 2.0, -v[12:13]
	v_fma_f64 v[30:31], v[60:61], 2.0, -v[14:15]
	v_fma_f64 v[32:33], v[62:63], 2.0, -v[16:17]
	v_fma_f64 v[34:35], v[64:65], 2.0, -v[18:19]
	v_fma_f64 v[36:37], v[46:47], 2.0, -v[20:21]
	v_fma_f64 v[38:39], v[48:49], 2.0, -v[22:23]
	v_mad_u32_u24 v46, 0x140, v66, 0
	v_mad_u32_u24 v47, 0x140, v67, 0
	;; [unrolled: 1-line block ×3, first 2 shown]
	v_add3_u32 v46, v46, v81, v40
	v_add3_u32 v47, v47, v82, v40
	;; [unrolled: 1-line block ×3, first 2 shown]
	ds_write_b128 v42, v[4:7] offset:160
	ds_write_b128 v42, v[0:3]
	ds_write_b128 v43, v[24:27]
	ds_write_b128 v43, v[8:11] offset:160
	ds_write_b128 v46, v[28:31]
	ds_write_b128 v46, v[12:15] offset:160
	;; [unrolled: 2-line block ×4, first 2 shown]
	s_waitcnt lgkmcnt(0)
	s_barrier
	buffer_gl0_inv
                                        ; implicit-def: $vgpr42_vgpr43
	s_and_saveexec_b32 s1, s0
	s_cbranch_execnz .LBB0_13
; %bb.11:
	s_or_b32 exec_lo, exec_lo, s1
	s_and_b32 s0, vcc_lo, s0
	s_and_saveexec_b32 s1, s0
	s_cbranch_execnz .LBB0_14
.LBB0_12:
	s_endpgm
.LBB0_13:
	ds_read_b128 v[0:3], v45
	ds_read_b128 v[4:7], v41 offset:320
	ds_read_b128 v[24:27], v41 offset:640
	;; [unrolled: 1-line block ×10, first 2 shown]
	s_or_b32 exec_lo, exec_lo, s1
	s_and_b32 s0, vcc_lo, s0
	s_and_saveexec_b32 s1, s0
	s_cbranch_execz .LBB0_12
.LBB0_14:
	v_lshlrev_b32_e32 v56, 4, v44
	v_add_co_u32 v238, vcc_lo, s2, v86
	v_add_co_ci_u32_e32 v239, vcc_lo, s3, v87, vcc_lo
	s_clause 0x9
	global_load_dwordx4 v[44:47], v56, s[8:9] offset:160
	global_load_dwordx4 v[48:51], v56, s[8:9] offset:304
	global_load_dwordx4 v[68:71], v56, s[8:9] offset:176
	global_load_dwordx4 v[80:83], v56, s[8:9] offset:288
	global_load_dwordx4 v[76:79], v56, s[8:9] offset:192
	global_load_dwordx4 v[72:75], v56, s[8:9] offset:272
	global_load_dwordx4 v[52:55], v56, s[8:9] offset:224
	global_load_dwordx4 v[64:67], v56, s[8:9] offset:208
	global_load_dwordx4 v[60:63], v56, s[8:9] offset:256
	global_load_dwordx4 v[56:59], v56, s[8:9] offset:240
	s_mov_b32 s0, 0x640f44db
	s_mov_b32 s12, 0x43842ef
	;; [unrolled: 1-line block ×30, first 2 shown]
	v_mov_b32_e32 v85, 0
	s_waitcnt vmcnt(9) lgkmcnt(9)
	v_mul_f64 v[86:87], v[6:7], v[44:45]
	v_mul_f64 v[6:7], v[6:7], v[46:47]
	s_waitcnt vmcnt(8) lgkmcnt(0)
	v_mul_f64 v[88:89], v[42:43], v[48:49]
	v_mul_f64 v[42:43], v[42:43], v[50:51]
	s_waitcnt vmcnt(7)
	v_mul_f64 v[90:91], v[26:27], v[68:69]
	v_mul_f64 v[26:27], v[26:27], v[70:71]
	s_waitcnt vmcnt(6)
	;; [unrolled: 3-line block ×5, first 2 shown]
	v_mul_f64 v[98:99], v[14:15], v[52:53]
	s_waitcnt vmcnt(2)
	v_mul_f64 v[100:101], v[30:31], v[64:65]
	s_waitcnt vmcnt(1)
	v_mul_f64 v[102:103], v[18:19], v[60:61]
	v_mul_f64 v[14:15], v[14:15], v[54:55]
	s_waitcnt vmcnt(0)
	v_mul_f64 v[104:105], v[34:35], v[56:57]
	v_mul_f64 v[30:31], v[30:31], v[66:67]
	;; [unrolled: 1-line block ×4, first 2 shown]
	v_fma_f64 v[46:47], v[4:5], v[46:47], v[86:87]
	v_fma_f64 v[4:5], v[4:5], v[44:45], -v[6:7]
	v_fma_f64 v[44:45], v[40:41], v[50:51], v[88:89]
	v_fma_f64 v[40:41], v[40:41], v[48:49], -v[42:43]
	;; [unrolled: 2-line block ×6, first 2 shown]
	v_fma_f64 v[50:51], v[12:13], v[54:55], v[98:99]
	v_fma_f64 v[38:39], v[28:29], v[66:67], v[100:101]
	;; [unrolled: 1-line block ×3, first 2 shown]
	v_fma_f64 v[12:13], v[12:13], v[52:53], -v[14:15]
	v_fma_f64 v[54:55], v[32:33], v[58:59], v[104:105]
	v_fma_f64 v[28:29], v[28:29], v[64:65], -v[30:31]
	v_fma_f64 v[16:17], v[16:17], v[60:61], -v[18:19]
	;; [unrolled: 1-line block ×3, first 2 shown]
	v_lshlrev_b64 v[48:49], 4, v[84:85]
	v_or_b32_e32 v84, 0xa0, v84
	v_add_f64 v[18:19], v[46:47], v[44:45]
	v_add_f64 v[30:31], v[4:5], -v[40:41]
	v_add_f64 v[32:33], v[46:47], -v[44:45]
	v_add_f64 v[34:35], v[4:5], v[40:41]
	v_add_f64 v[46:47], v[2:3], v[46:47]
	;; [unrolled: 1-line block ×4, first 2 shown]
	v_add_f64 v[58:59], v[6:7], -v[26:27]
	v_add_f64 v[62:63], v[22:23], v[10:11]
	v_add_f64 v[66:67], v[22:23], -v[10:11]
	v_add_f64 v[56:57], v[24:25], -v[20:21]
	v_add_f64 v[60:61], v[24:25], v[20:21]
	v_add_f64 v[70:71], v[38:39], v[42:43]
	v_add_f64 v[72:73], v[38:39], -v[42:43]
	v_add_f64 v[74:75], v[50:51], v[54:55]
	v_add_f64 v[76:77], v[50:51], -v[54:55]
	v_add_f64 v[64:65], v[8:9], -v[36:37]
	v_add_f64 v[68:69], v[8:9], v[36:37]
	v_add_f64 v[78:79], v[28:29], -v[16:17]
	v_add_f64 v[80:81], v[28:29], v[16:17]
	;; [unrolled: 2-line block ×3, first 2 shown]
	v_mul_f64 v[88:89], v[18:19], s[10:11]
	v_mul_f64 v[90:91], v[18:19], s[6:7]
	;; [unrolled: 1-line block ×4, first 2 shown]
	v_add_f64 v[6:7], v[6:7], v[46:47]
	v_add_f64 v[4:5], v[24:25], v[4:5]
	v_mul_f64 v[18:19], v[18:19], s[8:9]
	v_mul_f64 v[96:97], v[32:33], s[30:31]
	;; [unrolled: 1-line block ×20, first 2 shown]
	v_add_f64 v[6:7], v[22:23], v[6:7]
	v_add_f64 v[4:5], v[8:9], v[4:5]
	v_mul_f64 v[132:133], v[74:75], s[4:5]
	v_mul_f64 v[134:135], v[76:77], s[24:25]
	;; [unrolled: 1-line block ×20, first 2 shown]
	v_add_f64 v[6:7], v[38:39], v[6:7]
	v_add_f64 v[4:5], v[28:29], v[4:5]
	v_mul_f64 v[156:157], v[72:73], s[18:19]
	v_mul_f64 v[158:159], v[72:73], s[12:13]
	;; [unrolled: 1-line block ×6, first 2 shown]
	v_fma_f64 v[164:165], v[30:31], s[20:21], v[88:89]
	v_fma_f64 v[88:89], v[30:31], s[30:31], v[88:89]
	;; [unrolled: 1-line block ×11, first 2 shown]
	v_fma_f64 v[96:97], v[34:35], s[10:11], -v[96:97]
	v_fma_f64 v[174:175], v[34:35], s[6:7], v[98:99]
	v_fma_f64 v[176:177], v[34:35], s[0:1], v[100:101]
	;; [unrolled: 1-line block ×3, first 2 shown]
	v_fma_f64 v[32:33], v[34:35], s[8:9], -v[32:33]
	v_fma_f64 v[98:99], v[34:35], s[6:7], -v[98:99]
	v_fma_f64 v[178:179], v[34:35], s[4:5], v[102:103]
	v_fma_f64 v[102:103], v[34:35], s[4:5], -v[102:103]
	v_fma_f64 v[100:101], v[34:35], s[0:1], -v[100:101]
	v_add_f64 v[6:7], v[50:51], v[6:7]
	v_add_f64 v[4:5], v[12:13], v[4:5]
	v_fma_f64 v[34:35], v[56:57], s[18:19], v[104:105]
	v_fma_f64 v[182:183], v[60:61], s[8:9], v[106:107]
	;; [unrolled: 1-line block ×9, first 2 shown]
	v_fma_f64 v[106:107], v[60:61], s[8:9], -v[106:107]
	v_fma_f64 v[108:109], v[64:65], s[26:27], v[108:109]
	v_fma_f64 v[110:111], v[68:69], s[6:7], -v[110:111]
	v_fma_f64 v[112:113], v[78:79], s[24:25], v[112:113]
	;; [unrolled: 2-line block ×4, first 2 shown]
	v_fma_f64 v[198:199], v[60:61], s[0:1], v[122:123]
	v_fma_f64 v[200:201], v[64:65], s[28:29], v[124:125]
	;; [unrolled: 1-line block ×8, first 2 shown]
	v_fma_f64 v[122:123], v[60:61], s[0:1], -v[122:123]
	v_fma_f64 v[124:125], v[64:65], s[18:19], v[124:125]
	v_fma_f64 v[126:127], v[68:69], s[8:9], -v[126:127]
	v_fma_f64 v[128:129], v[78:79], s[30:31], v[128:129]
	;; [unrolled: 2-line block ×4, first 2 shown]
	v_fma_f64 v[24:25], v[82:83], s[26:27], v[24:25]
	v_fma_f64 v[214:215], v[82:83], s[18:19], v[46:47]
	;; [unrolled: 1-line block ×24, first 2 shown]
	v_fma_f64 v[148:149], v[60:61], s[10:11], -v[148:149]
	v_fma_f64 v[226:227], v[60:61], s[6:7], v[150:151]
	v_fma_f64 v[150:151], v[60:61], s[6:7], -v[150:151]
	v_fma_f64 v[28:29], v[60:61], s[4:5], v[58:59]
	;; [unrolled: 2-line block ×11, first 2 shown]
	v_fma_f64 v[76:77], v[86:87], s[10:11], -v[76:77]
	v_add_f64 v[12:13], v[2:3], v[164:165]
	v_add_f64 v[30:31], v[0:1], v[30:31]
	;; [unrolled: 1-line block ×110, first 2 shown]
	v_add_co_u32 v44, vcc_lo, v238, v48
	v_add_co_ci_u32_e32 v45, vcc_lo, v239, v49, vcc_lo
	v_lshlrev_b64 v[46:47], 4, v[84:85]
	v_add_co_u32 v48, vcc_lo, 0x800, v44
	v_add_co_ci_u32_e32 v49, vcc_lo, 0, v45, vcc_lo
	v_add_co_u32 v46, vcc_lo, v238, v46
	v_add_co_ci_u32_e32 v47, vcc_lo, v239, v47, vcc_lo
	global_store_dwordx4 v[44:45], v[28:31], off offset:320
	global_store_dwordx4 v[44:45], v[24:27], off offset:640
	global_store_dwordx4 v[44:45], v[20:23], off offset:960
	global_store_dwordx4 v[44:45], v[12:15], off offset:1280
	global_store_dwordx4 v[44:45], v[4:7], off offset:1600
	global_store_dwordx4 v[44:45], v[0:3], off offset:1920
	global_store_dwordx4 v[48:49], v[8:11], off offset:192
	global_store_dwordx4 v[46:47], v[16:19], off
	global_store_dwordx4 v[48:49], v[32:35], off offset:832
	global_store_dwordx4 v[44:45], v[40:43], off
	global_store_dwordx4 v[48:49], v[36:39], off offset:1152
	s_endpgm
	.section	.rodata,"a",@progbits
	.p2align	6, 0x0
	.amdhsa_kernel fft_rtc_fwd_len220_factors_10_2_11_wgs_110_tpt_22_dp_ip_CI_unitstride_sbrr_dirReg
		.amdhsa_group_segment_fixed_size 0
		.amdhsa_private_segment_fixed_size 0
		.amdhsa_kernarg_size 88
		.amdhsa_user_sgpr_count 6
		.amdhsa_user_sgpr_private_segment_buffer 1
		.amdhsa_user_sgpr_dispatch_ptr 0
		.amdhsa_user_sgpr_queue_ptr 0
		.amdhsa_user_sgpr_kernarg_segment_ptr 1
		.amdhsa_user_sgpr_dispatch_id 0
		.amdhsa_user_sgpr_flat_scratch_init 0
		.amdhsa_user_sgpr_private_segment_size 0
		.amdhsa_wavefront_size32 1
		.amdhsa_uses_dynamic_stack 0
		.amdhsa_system_sgpr_private_segment_wavefront_offset 0
		.amdhsa_system_sgpr_workgroup_id_x 1
		.amdhsa_system_sgpr_workgroup_id_y 0
		.amdhsa_system_sgpr_workgroup_id_z 0
		.amdhsa_system_sgpr_workgroup_info 0
		.amdhsa_system_vgpr_workitem_id 0
		.amdhsa_next_free_vgpr 240
		.amdhsa_next_free_sgpr 32
		.amdhsa_reserve_vcc 1
		.amdhsa_reserve_flat_scratch 0
		.amdhsa_float_round_mode_32 0
		.amdhsa_float_round_mode_16_64 0
		.amdhsa_float_denorm_mode_32 3
		.amdhsa_float_denorm_mode_16_64 3
		.amdhsa_dx10_clamp 1
		.amdhsa_ieee_mode 1
		.amdhsa_fp16_overflow 0
		.amdhsa_workgroup_processor_mode 1
		.amdhsa_memory_ordered 1
		.amdhsa_forward_progress 0
		.amdhsa_shared_vgpr_count 0
		.amdhsa_exception_fp_ieee_invalid_op 0
		.amdhsa_exception_fp_denorm_src 0
		.amdhsa_exception_fp_ieee_div_zero 0
		.amdhsa_exception_fp_ieee_overflow 0
		.amdhsa_exception_fp_ieee_underflow 0
		.amdhsa_exception_fp_ieee_inexact 0
		.amdhsa_exception_int_div_zero 0
	.end_amdhsa_kernel
	.text
.Lfunc_end0:
	.size	fft_rtc_fwd_len220_factors_10_2_11_wgs_110_tpt_22_dp_ip_CI_unitstride_sbrr_dirReg, .Lfunc_end0-fft_rtc_fwd_len220_factors_10_2_11_wgs_110_tpt_22_dp_ip_CI_unitstride_sbrr_dirReg
                                        ; -- End function
	.section	.AMDGPU.csdata,"",@progbits
; Kernel info:
; codeLenInByte = 7060
; NumSgprs: 34
; NumVgprs: 240
; ScratchSize: 0
; MemoryBound: 1
; FloatMode: 240
; IeeeMode: 1
; LDSByteSize: 0 bytes/workgroup (compile time only)
; SGPRBlocks: 4
; VGPRBlocks: 29
; NumSGPRsForWavesPerEU: 34
; NumVGPRsForWavesPerEU: 240
; Occupancy: 4
; WaveLimiterHint : 1
; COMPUTE_PGM_RSRC2:SCRATCH_EN: 0
; COMPUTE_PGM_RSRC2:USER_SGPR: 6
; COMPUTE_PGM_RSRC2:TRAP_HANDLER: 0
; COMPUTE_PGM_RSRC2:TGID_X_EN: 1
; COMPUTE_PGM_RSRC2:TGID_Y_EN: 0
; COMPUTE_PGM_RSRC2:TGID_Z_EN: 0
; COMPUTE_PGM_RSRC2:TIDIG_COMP_CNT: 0
	.text
	.p2alignl 6, 3214868480
	.fill 48, 4, 3214868480
	.type	__hip_cuid_b9aa5267ae0e6bc,@object ; @__hip_cuid_b9aa5267ae0e6bc
	.section	.bss,"aw",@nobits
	.globl	__hip_cuid_b9aa5267ae0e6bc
__hip_cuid_b9aa5267ae0e6bc:
	.byte	0                               ; 0x0
	.size	__hip_cuid_b9aa5267ae0e6bc, 1

	.ident	"AMD clang version 19.0.0git (https://github.com/RadeonOpenCompute/llvm-project roc-6.4.0 25133 c7fe45cf4b819c5991fe208aaa96edf142730f1d)"
	.section	".note.GNU-stack","",@progbits
	.addrsig
	.addrsig_sym __hip_cuid_b9aa5267ae0e6bc
	.amdgpu_metadata
---
amdhsa.kernels:
  - .args:
      - .actual_access:  read_only
        .address_space:  global
        .offset:         0
        .size:           8
        .value_kind:     global_buffer
      - .offset:         8
        .size:           8
        .value_kind:     by_value
      - .actual_access:  read_only
        .address_space:  global
        .offset:         16
        .size:           8
        .value_kind:     global_buffer
      - .actual_access:  read_only
        .address_space:  global
        .offset:         24
        .size:           8
        .value_kind:     global_buffer
      - .offset:         32
        .size:           8
        .value_kind:     by_value
      - .actual_access:  read_only
        .address_space:  global
        .offset:         40
        .size:           8
        .value_kind:     global_buffer
      - .actual_access:  read_only
        .address_space:  global
        .offset:         48
        .size:           8
        .value_kind:     global_buffer
      - .offset:         56
        .size:           4
        .value_kind:     by_value
      - .actual_access:  read_only
        .address_space:  global
        .offset:         64
        .size:           8
        .value_kind:     global_buffer
      - .actual_access:  read_only
        .address_space:  global
        .offset:         72
        .size:           8
        .value_kind:     global_buffer
      - .address_space:  global
        .offset:         80
        .size:           8
        .value_kind:     global_buffer
    .group_segment_fixed_size: 0
    .kernarg_segment_align: 8
    .kernarg_segment_size: 88
    .language:       OpenCL C
    .language_version:
      - 2
      - 0
    .max_flat_workgroup_size: 110
    .name:           fft_rtc_fwd_len220_factors_10_2_11_wgs_110_tpt_22_dp_ip_CI_unitstride_sbrr_dirReg
    .private_segment_fixed_size: 0
    .sgpr_count:     34
    .sgpr_spill_count: 0
    .symbol:         fft_rtc_fwd_len220_factors_10_2_11_wgs_110_tpt_22_dp_ip_CI_unitstride_sbrr_dirReg.kd
    .uniform_work_group_size: 1
    .uses_dynamic_stack: false
    .vgpr_count:     240
    .vgpr_spill_count: 0
    .wavefront_size: 32
    .workgroup_processor_mode: 1
amdhsa.target:   amdgcn-amd-amdhsa--gfx1030
amdhsa.version:
  - 1
  - 2
...

	.end_amdgpu_metadata
